;; amdgpu-corpus repo=zjin-lcf/HeCBench kind=compiled arch=gfx1250 opt=O3
	.amdgcn_target "amdgcn-amd-amdhsa--gfx1250"
	.amdhsa_code_object_version 6
	.section	.text._Z14welford_kernelIfffEvPKT_PT1_S4_iii,"axG",@progbits,_Z14welford_kernelIfffEvPKT_PT1_S4_iii,comdat
	.protected	_Z14welford_kernelIfffEvPKT_PT1_S4_iii ; -- Begin function _Z14welford_kernelIfffEvPKT_PT1_S4_iii
	.globl	_Z14welford_kernelIfffEvPKT_PT1_S4_iii
	.p2align	8
	.type	_Z14welford_kernelIfffEvPKT_PT1_S4_iii,@function
_Z14welford_kernelIfffEvPKT_PT1_S4_iii: ; @_Z14welford_kernelIfffEvPKT_PT1_S4_iii
; %bb.0:
	s_clause 0x2
	s_load_b96 s[8:10], s[0:1], 0x18
	s_load_b32 s2, s[0:1], 0x34
	s_load_b128 s[4:7], s[0:1], 0x8
	s_bfe_u32 s11, ttmp6, 0x4000c
	v_dual_mov_b32 v7, 0 :: v_dual_mov_b32 v1, 0
	s_add_co_i32 s11, s11, 1
	s_and_b32 s3, ttmp6, 15
	s_mul_i32 s11, ttmp9, s11
	s_getreg_b32 s13, hwreg(HW_REG_IB_STS2, 6, 4)
	v_bfe_u32 v2, v0, 10, 10
	v_and_b32_e32 v3, 0x3ff, v0
	s_add_co_i32 s3, s3, s11
	v_mov_b32_e32 v0, v1
	s_cmp_eq_u32 s13, 0
	s_mov_b32 s12, 0
	s_cselect_b32 s11, ttmp9, s3
	s_mov_b32 s15, exec_lo
	s_wait_kmcnt 0x0
	s_lshr_b32 s14, s2, 16
	s_and_b32 s13, s2, 0xffff
	v_cmpx_gt_i32_e64 s8, v2
	s_cbranch_execz .LBB0_8
; %bb.1:
	v_mad_u32 v0, v2, s9, s11
	s_load_b64 s[2:3], s[0:1], 0x0
	s_wait_xcnt 0x0
	v_cmp_gt_i32_e64 s0, s10, v3
	s_mul_i32 s1, s10, s9
	v_mov_b32_e32 v7, 0
	s_mul_i32 s1, s1, s14
	v_mul_lo_u32 v4, s10, v0
	v_dual_mov_b32 v0, 0 :: v_dual_mov_b32 v5, v2
	s_delay_alu instid0(VALU_DEP_1)
	v_mov_b32_e32 v1, v0
	s_branch .LBB0_3
.LBB0_2:                                ;   in Loop: Header=BB0_3 Depth=1
	s_or_b32 exec_lo, exec_lo, s9
	s_delay_alu instid0(VALU_DEP_3) | instskip(NEXT) | instid1(VALU_DEP_1)
	v_dual_add_nc_u32 v5, s14, v5 :: v_dual_add_nc_u32 v4, s1, v4
	v_cmp_le_i32_e32 vcc_lo, s8, v5
	s_or_b32 s12, vcc_lo, s12
	s_delay_alu instid0(SALU_CYCLE_1)
	s_and_not1_b32 exec_lo, exec_lo, s12
	s_cbranch_execz .LBB0_7
.LBB0_3:                                ; =>This Loop Header: Depth=1
                                        ;     Child Loop BB0_5 Depth 2
	s_and_saveexec_b32 s9, s0
	s_cbranch_execz .LBB0_2
; %bb.4:                                ;   in Loop: Header=BB0_3 Depth=1
	v_mov_b32_e32 v6, v3
	s_mov_b32 s16, 0
.LBB0_5:                                ;   Parent Loop BB0_3 Depth=1
                                        ; =>  This Inner Loop Header: Depth=2
	s_delay_alu instid0(VALU_DEP_1)
	v_dual_add_nc_u32 v8, v4, v6 :: v_dual_add_nc_u32 v7, 1, v7
	v_add_nc_u32_e32 v6, s13, v6
	s_wait_kmcnt 0x0
	global_load_b32 v8, v8, s[2:3] scale_offset
	v_cvt_f32_i32_e32 v9, v7
	s_wait_loadcnt 0x0
	v_sub_f32_e32 v10, v8, v0
	s_delay_alu instid0(VALU_DEP_1) | instskip(SKIP_1) | instid1(VALU_DEP_2)
	v_div_scale_f32 v11, null, v9, v9, v10
	v_div_scale_f32 v14, vcc_lo, v10, v9, v10
	v_rcp_f32_e32 v12, v11
	v_nop
	s_delay_alu instid0(TRANS32_DEP_1) | instskip(NEXT) | instid1(VALU_DEP_1)
	v_fma_f32 v13, -v11, v12, 1.0
	v_fmac_f32_e32 v12, v13, v12
	s_delay_alu instid0(VALU_DEP_1) | instskip(NEXT) | instid1(VALU_DEP_1)
	v_mul_f32_e32 v13, v14, v12
	v_fma_f32 v15, -v11, v13, v14
	s_delay_alu instid0(VALU_DEP_1) | instskip(NEXT) | instid1(VALU_DEP_1)
	v_fmac_f32_e32 v13, v15, v12
	v_fma_f32 v11, -v11, v13, v14
	s_delay_alu instid0(VALU_DEP_1) | instskip(SKIP_1) | instid1(VALU_DEP_2)
	v_div_fmas_f32 v11, v11, v12, v13
	v_cmp_le_i32_e32 vcc_lo, s10, v6
	v_div_fixup_f32 v9, v11, v9, v10
	s_or_b32 s16, vcc_lo, s16
	s_delay_alu instid0(VALU_DEP_1) | instskip(NEXT) | instid1(VALU_DEP_1)
	v_add_f32_e32 v0, v0, v9
	v_sub_f32_e32 v8, v8, v0
	s_delay_alu instid0(VALU_DEP_1)
	v_fmac_f32_e32 v1, v10, v8
	s_and_not1_b32 exec_lo, exec_lo, s16
	s_cbranch_execnz .LBB0_5
; %bb.6:                                ;   in Loop: Header=BB0_3 Depth=1
	s_or_b32 exec_lo, exec_lo, s16
	s_branch .LBB0_2
.LBB0_7:
	s_or_b32 exec_lo, exec_lo, s12
.LBB0_8:
	s_delay_alu instid0(SALU_CYCLE_1) | instskip(SKIP_3) | instid1(SALU_CYCLE_1)
	s_or_b32 exec_lo, exec_lo, s15
	v_mad_u32_u24 v8, v2, s13, v3
	v_mbcnt_lo_u32_b32 v9, -1, 0
	s_mul_i32 s8, s14, s13
	s_cmp_lt_i32 s8, 33
	s_cbranch_scc1 .LBB0_16
; %bb.9:
	s_delay_alu instid0(VALU_DEP_1)
	v_lshl_or_b32 v6, v9, 2, 64
	v_cmp_gt_u32_e32 vcc_lo, 24, v9
	v_cvt_f32_i32_e32 v10, v7
	ds_bpermute_b32 v3, v6, v7
	v_cndmask_b32_e64 v2, 0, 8, vcc_lo
	v_cmp_gt_u32_e32 vcc_lo, 28, v9
	ds_bpermute_b32 v11, v6, v0
	v_add_lshl_u32 v22, v2, v9, 2
	v_cndmask_b32_e64 v2, 0, 4, vcc_lo
	v_cmp_gt_u32_e32 vcc_lo, 30, v9
	s_delay_alu instid0(VALU_DEP_2) | instskip(SKIP_2) | instid1(VALU_DEP_2)
	v_add_lshl_u32 v23, v2, v9, 2
	v_cndmask_b32_e64 v2, 0, 2, vcc_lo
	v_cmp_ne_u32_e32 vcc_lo, 31, v9
	v_add_lshl_u32 v26, v2, v9, 2
	v_add_co_ci_u32_e64 v4, null, 0, v9, vcc_lo
	s_wait_dscnt 0x1
	v_add_nc_u32_e32 v14, v3, v7
	v_cvt_f32_i32_e32 v5, v3
	s_delay_alu instid0(VALU_DEP_3)
	v_lshlrev_b32_e32 v28, 2, v4
	ds_bpermute_b32 v17, v22, v14
	s_wait_dscnt 0x0
	v_add_nc_u32_e32 v24, v17, v14
	v_cvt_f32_i32_e32 v17, v17
	ds_bpermute_b32 v25, v23, v24
	s_wait_dscnt 0x0
	v_add_nc_u32_e32 v2, v25, v24
	ds_bpermute_b32 v27, v26, v2
	s_wait_dscnt 0x0
	v_add_nc_u32_e32 v29, v27, v2
	v_max_i32_e32 v4, 1, v14
	s_delay_alu instid0(VALU_DEP_1)
	v_cvt_f32_u32_e32 v15, v4
	v_max_i32_e32 v4, 1, v24
	ds_bpermute_b32 v30, v28, v29
	v_div_scale_f32 v12, null, v15, v15, 1.0
	v_cvt_f32_u32_e32 v20, v4
	v_div_scale_f32 v16, s0, 1.0, v15, 1.0
	s_delay_alu instid0(VALU_DEP_3) | instskip(NEXT) | instid1(VALU_DEP_2)
	v_rcp_f32_e32 v3, v12
	v_div_scale_f32 v4, null, v20, v20, 1.0
	v_div_scale_f32 v36, vcc_lo, 1.0, v20, 1.0
	s_delay_alu instid0(TRANS32_DEP_1) | instskip(NEXT) | instid1(VALU_DEP_1)
	v_fma_f32 v18, -v12, v3, 1.0
	v_dual_fmac_f32 v3, v18, v3 :: v_dual_max_i32 v13, 1, v2
	s_delay_alu instid0(VALU_DEP_1)
	v_cvt_f32_u32_e32 v31, v13
	v_rcp_f32_e32 v13, v4
	s_wait_dscnt 0x0
	v_dual_add_nc_u32 v7, v30, v29 :: v_dual_max_i32 v19, 1, v29
	v_mul_f32_e32 v37, v16, v3
	v_div_scale_f32 v32, null, v31, v31, 1.0
	v_div_scale_f32 v41, s1, 1.0, v31, 1.0
	s_delay_alu instid0(TRANS32_DEP_1) | instskip(SKIP_3) | instid1(VALU_DEP_3)
	v_fma_f32 v18, -v4, v13, 1.0
	v_max_i32_e32 v21, 1, v7
	v_cvt_f32_u32_e32 v33, v19
	v_rcp_f32_e32 v19, v32
	v_fmac_f32_e32 v13, v18, v13
	s_delay_alu instid0(VALU_DEP_3) | instskip(NEXT) | instid1(VALU_DEP_3)
	v_cvt_f32_u32_e32 v34, v21
	v_div_scale_f32 v21, null, v33, v33, 1.0
	s_wait_kmcnt 0x0
	v_div_scale_f32 v43, s2, 1.0, v33, 1.0
	s_delay_alu instid0(VALU_DEP_3) | instskip(NEXT) | instid1(VALU_DEP_3)
	v_div_scale_f32 v35, null, v34, v34, 1.0
	v_rcp_f32_e32 v18, v21
	v_fma_f32 v39, -v32, v19, 1.0
	v_mul_f32_e32 v40, v36, v13
	s_delay_alu instid0(VALU_DEP_3) | instskip(NEXT) | instid1(VALU_DEP_2)
	v_rcp_f32_e32 v38, v35
	v_fmac_f32_e32 v19, v39, v19
	s_delay_alu instid0(TRANS32_DEP_2) | instskip(NEXT) | instid1(VALU_DEP_3)
	v_fma_f32 v42, -v21, v18, 1.0
	v_fma_f32 v44, -v4, v40, v36
	s_delay_alu instid0(TRANS32_DEP_1) | instskip(NEXT) | instid1(VALU_DEP_3)
	v_fma_f32 v39, -v35, v38, 1.0
	v_fmac_f32_e32 v18, v42, v18
	v_div_scale_f32 v42, s3, 1.0, v34, 1.0
	s_delay_alu instid0(VALU_DEP_3) | instskip(NEXT) | instid1(VALU_DEP_3)
	v_dual_fmac_f32 v38, v39, v38 :: v_dual_fma_f32 v39, -v12, v37, v16
	v_dual_mul_f32 v45, v41, v19 :: v_dual_mul_f32 v46, v43, v18
	s_delay_alu instid0(VALU_DEP_2) | instskip(NEXT) | instid1(VALU_DEP_3)
	v_dual_fmac_f32 v40, v44, v13 :: v_dual_mul_f32 v47, v42, v38
	v_fmac_f32_e32 v37, v39, v3
	s_delay_alu instid0(VALU_DEP_3) | instskip(NEXT) | instid1(VALU_DEP_2)
	v_dual_fma_f32 v39, -v32, v45, v41 :: v_dual_fma_f32 v44, -v21, v46, v43
	v_dual_fma_f32 v48, -v35, v47, v42 :: v_dual_fma_f32 v12, -v12, v37, v16
	s_delay_alu instid0(VALU_DEP_2) | instskip(NEXT) | instid1(VALU_DEP_2)
	v_dual_fmac_f32 v45, v39, v19 :: v_dual_fmac_f32 v46, v44, v18
	v_fmac_f32_e32 v47, v48, v38
	s_delay_alu instid0(VALU_DEP_1) | instskip(NEXT) | instid1(VALU_DEP_1)
	v_dual_fma_f32 v4, -v4, v40, v36 :: v_dual_fma_f32 v16, -v35, v47, v42
	v_div_fmas_f32 v36, v4, v13, v40
	s_delay_alu instid0(VALU_DEP_4) | instskip(SKIP_1) | instid1(VALU_DEP_2)
	v_dual_fma_f32 v4, -v21, v46, v43 :: v_dual_fma_f32 v13, -v32, v45, v41
	s_mov_b32 vcc_lo, s2
	v_div_fixup_f32 v36, v36, v20, 1.0
	s_delay_alu instid0(VALU_DEP_2)
	v_div_fmas_f32 v32, v4, v18, v46
	s_mov_b32 vcc_lo, s3
	v_mul_f32_e32 v4, v5, v11
	v_div_fmas_f32 v35, v16, v38, v47
	s_mov_b32 vcc_lo, s1
	v_cvt_f32_i32_e32 v16, v14
	v_div_fmas_f32 v38, v13, v19, v45
	s_mov_b32 vcc_lo, s0
	v_mov_b32_e32 v13, v5
	v_div_fmas_f32 v3, v12, v3, v37
	s_mov_b32 s0, exec_lo
	v_div_fixup_f32 v14, v38, v31, 1.0
	s_delay_alu instid0(VALU_DEP_2) | instskip(SKIP_1) | instid1(VALU_DEP_1)
	v_div_fixup_f32 v15, v3, v15, 1.0
	v_dual_mov_b32 v12, v0 :: v_dual_mov_b32 v3, v10
	v_pk_fma_f32 v[12:13], v[12:13], v[10:11], v[4:5] op_sel_hi:[1,1,0]
	s_delay_alu instid0(VALU_DEP_3) | instskip(NEXT) | instid1(VALU_DEP_1)
	v_mov_b32_e32 v4, v15
	v_pk_mul_f32 v[12:13], v[4:5], v[12:13]
	v_mov_b32_e32 v4, v11
	ds_bpermute_b32 v13, v22, v12
	v_pk_add_f32 v[20:21], v[0:1], v[4:5] neg_lo:[0,1] neg_hi:[0,1]
	v_cvt_f32_i32_e32 v4, v24
	s_delay_alu instid0(VALU_DEP_2) | instskip(SKIP_2) | instid1(VALU_DEP_1)
	v_pk_mul_f32 v[20:21], v[20:21], v[20:21]
	s_wait_dscnt 0x0
	v_pk_mul_f32 v[18:19], v[12:13], v[16:17]
	v_add_f32_e32 v37, v18, v19
	s_delay_alu instid0(VALU_DEP_1) | instskip(SKIP_4) | instid1(VALU_DEP_1)
	v_mul_f32_e32 v18, v36, v37
	ds_bpermute_b32 v39, v23, v18
	v_mov_b32_e32 v19, v20
	v_cvt_f32_i32_e32 v20, v25
	s_wait_dscnt 0x0
	v_mul_f32_e32 v0, v20, v39
	s_delay_alu instid0(VALU_DEP_3) | instskip(NEXT) | instid1(VALU_DEP_2)
	v_pk_mul_f32 v[10:11], v[18:19], v[4:5]
	v_pk_fma_f32 v[18:19], v[18:19], v[4:5], v[0:1]
	s_delay_alu instid0(VALU_DEP_2) | instskip(SKIP_4) | instid1(VALU_DEP_1)
	v_pk_mul_f32 v[10:11], v[10:11], v[2:3]
	ds_bpermute_b32 v3, v6, v1
	v_cvt_f32_i32_e32 v6, v2
	v_mov_b32_e32 v19, v11
	s_wait_dscnt 0x0
	v_pk_fma_f32 v[2:3], v[14:15], v[18:19], v[2:3]
	v_sub_f32_e32 v2, v12, v13
	v_pk_mul_f32 v[10:11], v[14:15], v[18:19]
	v_cvt_f32_i32_e32 v15, v27
	s_delay_alu instid0(VALU_DEP_3) | instskip(SKIP_3) | instid1(VALU_DEP_1)
	v_mul_f32_e32 v2, v2, v2
	ds_bpermute_b32 v21, v26, v10
	v_pk_mul_f32 v[18:19], v[10:11], v[6:7]
	v_dual_mov_b32 v19, v3 :: v_dual_fma_f32 v11, v36, v37, -v39
	v_dual_mul_f32 v2, v2, v17 :: v_dual_mul_f32 v11, v11, v11
	s_delay_alu instid0(VALU_DEP_1) | instskip(SKIP_1) | instid1(VALU_DEP_3)
	v_mul_f32_e32 v5, v2, v16
	v_div_fixup_f32 v2, v32, v33, 1.0
	v_mul_f32_e32 v11, v11, v20
	s_wait_dscnt 0x0
	v_mul_f32_e32 v0, v15, v21
	s_delay_alu instid0(VALU_DEP_1) | instskip(SKIP_3) | instid1(VALU_DEP_1)
	v_pk_add_f32 v[0:1], v[0:1], v[18:19]
	ds_bpermute_b32 v3, v22, v1
	s_wait_dscnt 0x0
	v_fmac_f32_e32 v3, v36, v5
	v_pk_add_f32 v[12:13], v[0:1], v[2:3]
	v_pk_mul_f32 v[16:17], v[0:1], v[2:3]
	v_mul_f32_e32 v11, v11, v4
	v_cvt_f32_i32_e32 v4, v29
	ds_bpermute_b32 v5, v23, v13
	s_wait_dscnt 0x0
	v_dual_mov_b32 v12, v16 :: v_dual_fmac_f32 v5, v14, v11
	v_sub_f32_e32 v14, v10, v21
	s_delay_alu instid0(VALU_DEP_2)
	v_pk_add_f32 v[10:11], v[12:13], v[4:5]
	ds_bpermute_b32 v10, v28, v16
	v_mul_f32_e32 v5, v14, v14
	ds_bpermute_b32 v13, v26, v11
	v_mul_f32_e32 v5, v5, v15
	s_wait_dscnt 0x1
	v_pk_fma_f32 v[0:1], v[0:1], v[2:3], v[10:11] neg_lo:[0,0,1] neg_hi:[0,0,1]
	s_delay_alu instid0(VALU_DEP_2) | instskip(SKIP_1) | instid1(VALU_DEP_2)
	v_mul_f32_e32 v5, v5, v6
	v_cvt_f32_i32_e32 v6, v30
	v_dual_mul_f32 v0, v0, v0 :: v_dual_mul_f32 v5, v2, v5
	v_div_fixup_f32 v2, v35, v34, 1.0
	s_delay_alu instid0(VALU_DEP_2) | instskip(NEXT) | instid1(VALU_DEP_3)
	v_mul_f32_e32 v0, v0, v6
	v_pk_mul_f32 v[14:15], v[16:17], v[4:5]
	s_wait_dscnt 0x0
	v_dual_mul_f32 v12, v6, v10 :: v_dual_add_f32 v13, v5, v13
	s_delay_alu instid0(VALU_DEP_3) | instskip(SKIP_1) | instid1(VALU_DEP_2)
	v_dual_mov_b32 v15, v11 :: v_dual_mul_f32 v0, v0, v4
	v_and_b32_e32 v4, 31, v8
	v_pk_add_f32 v[12:13], v[14:15], v[12:13]
	ds_bpermute_b32 v3, v28, v13
	s_wait_dscnt 0x0
	v_fmac_f32_e32 v3, v2, v0
	s_delay_alu instid0(VALU_DEP_1)
	v_pk_add_f32 v[0:1], v[12:13], v[2:3]
	v_pk_mul_f32 v[2:3], v[12:13], v[2:3]
	v_cmpx_eq_u32_e32 0, v4
	s_cbranch_execz .LBB0_11
; %bb.10:
	v_dual_lshrrev_b32 v0, 2, v8 :: v_dual_lshrrev_b32 v3, 3, v8
	ds_store_2addr_b32 v0, v2, v1 offset0:32 offset1:33
	ds_store_b32 v3, v7
.LBB0_11:
	s_or_b32 exec_lo, exec_lo, s0
	s_delay_alu instid0(SALU_CYCLE_1)
	s_mov_b32 s0, exec_lo
	s_wait_dscnt 0x0
	s_barrier_signal -1
	s_barrier_wait -1
	v_cmpx_gt_u32_e32 32, v8
	s_cbranch_execz .LBB0_15
; %bb.12:
	s_lshr_b32 s1, s8, 5
	v_dual_mov_b32 v7, 0 :: v_dual_mov_b32 v1, 0
	v_cmp_gt_u32_e32 vcc_lo, s1, v8
	v_mov_b32_e32 v2, 0
	s_and_saveexec_b32 s1, vcc_lo
	s_cbranch_execz .LBB0_14
; %bb.13:
	v_lshlrev_b32_e32 v0, 3, v8
	v_lshlrev_b32_e32 v2, 2, v4
	ds_load_b64 v[0:1], v0 offset:128
	ds_load_b32 v7, v2
	s_wait_dscnt 0x1
	v_mov_b32_e32 v2, v0
.LBB0_14:
	s_or_b32 exec_lo, exec_lo, s1
.LBB0_15:
	s_delay_alu instid0(SALU_CYCLE_1) | instskip(NEXT) | instid1(VALU_DEP_1)
	s_or_b32 exec_lo, exec_lo, s0
	v_mov_b32_e32 v0, v2
.LBB0_16:
	s_mov_b32 s1, exec_lo
	v_cmpx_gt_u32_e32 32, v8
	s_cbranch_execz .LBB0_18
; %bb.17:
	v_lshl_or_b32 v22, v9, 2, 64
	v_cmp_gt_u32_e32 vcc_lo, 24, v9
	v_mov_b32_e32 v12, v0
	s_wait_dscnt 0x0
	ds_bpermute_b32 v2, v22, v7
	v_cndmask_b32_e64 v3, 0, 8, vcc_lo
	v_cmp_gt_u32_e32 vcc_lo, 28, v9
	ds_bpermute_b32 v11, v22, v0
	v_add_lshl_u32 v23, v3, v9, 2
	v_cndmask_b32_e64 v3, 0, 4, vcc_lo
	s_delay_alu instid0(VALU_DEP_1)
	v_add_lshl_u32 v24, v3, v9, 2
	s_wait_dscnt 0x1
	v_add_nc_u32_e32 v4, v2, v7
	ds_bpermute_b32 v14, v23, v4
	s_wait_dscnt 0x0
	v_add_nc_u32_e32 v20, v14, v4
	ds_bpermute_b32 v21, v24, v20
	s_wait_dscnt 0x0
	v_add_nc_u32_e32 v6, v21, v20
	v_max_i32_e32 v5, 1, v4
	s_delay_alu instid0(VALU_DEP_2) | instskip(NEXT) | instid1(VALU_DEP_2)
	v_max_i32_e32 v3, 1, v6
	v_cvt_f32_u32_e32 v5, v5
	s_delay_alu instid0(VALU_DEP_2) | instskip(NEXT) | instid1(VALU_DEP_2)
	v_cvt_f32_u32_e32 v25, v3
	v_div_scale_f32 v15, null, v5, v5, 1.0
	v_div_scale_f32 v19, s0, 1.0, v5, 1.0
	s_delay_alu instid0(VALU_DEP_3) | instskip(NEXT) | instid1(VALU_DEP_3)
	v_div_scale_f32 v13, null, v25, v25, 1.0
	v_rcp_f32_e32 v17, v15
	v_div_scale_f32 v18, vcc_lo, 1.0, v25, 1.0
	s_delay_alu instid0(VALU_DEP_2) | instskip(NEXT) | instid1(TRANS32_DEP_2)
	v_rcp_f32_e32 v16, v13
	v_fma_f32 v10, -v15, v17, 1.0
	s_delay_alu instid0(TRANS32_DEP_1) | instskip(NEXT) | instid1(VALU_DEP_2)
	v_fma_f32 v3, -v13, v16, 1.0
	v_fmac_f32_e32 v17, v10, v17
	v_cvt_f32_i32_e32 v10, v7
	s_delay_alu instid0(VALU_DEP_3) | instskip(NEXT) | instid1(VALU_DEP_3)
	v_fmac_f32_e32 v16, v3, v16
	v_dual_mul_f32 v27, v19, v17 :: v_dual_max_i32 v28, 1, v20
	s_delay_alu instid0(VALU_DEP_1) | instskip(NEXT) | instid1(VALU_DEP_2)
	v_dual_mul_f32 v26, v18, v16 :: v_dual_fma_f32 v29, -v15, v27, v19
	v_cvt_f32_u32_e32 v28, v28
	s_delay_alu instid0(VALU_DEP_2) | instskip(NEXT) | instid1(VALU_DEP_1)
	v_fma_f32 v3, -v13, v26, v18
	v_fmac_f32_e32 v26, v3, v16
	v_cvt_f32_i32_e32 v3, v2
	v_fmac_f32_e32 v27, v29, v17
	v_cvt_f32_i32_e32 v29, v21
	s_delay_alu instid0(VALU_DEP_3) | instskip(NEXT) | instid1(VALU_DEP_3)
	v_dual_fma_f32 v2, -v13, v26, v18 :: v_dual_mov_b32 v13, v3
	v_fma_f32 v7, -v15, v27, v19
	v_div_scale_f32 v18, null, v28, v28, 1.0
	s_delay_alu instid0(VALU_DEP_3)
	v_div_fmas_f32 v26, v2, v16, v26
	s_mov_b32 vcc_lo, s0
	v_mul_f32_e32 v2, v3, v11
	v_div_fmas_f32 v7, v7, v17, v27
	v_rcp_f32_e32 v16, v18
	v_div_scale_f32 v15, vcc_lo, 1.0, v28, 1.0
	s_delay_alu instid0(VALU_DEP_3) | instskip(NEXT) | instid1(VALU_DEP_3)
	v_pk_fma_f32 v[12:13], v[12:13], v[10:11], v[2:3] op_sel_hi:[1,1,0]
	v_div_fixup_f32 v5, v7, v5, 1.0
	v_cmp_ne_u32_e64 s0, 31, v9
	s_delay_alu instid0(TRANS32_DEP_1) | instskip(NEXT) | instid1(VALU_DEP_1)
	v_fma_f32 v7, -v18, v16, 1.0
	v_dual_mov_b32 v2, v5 :: v_dual_fmac_f32 v16, v7, v16
	s_delay_alu instid0(VALU_DEP_1) | instskip(SKIP_2) | instid1(VALU_DEP_1)
	v_pk_mul_f32 v[12:13], v[2:3], v[12:13]
	ds_bpermute_b32 v13, v23, v12
	v_mul_f32_e32 v2, v15, v16
	v_fma_f32 v7, -v18, v2, v15
	s_delay_alu instid0(VALU_DEP_1) | instskip(NEXT) | instid1(VALU_DEP_1)
	v_dual_fmac_f32 v2, v7, v16 :: v_dual_mov_b32 v7, v0
	v_fma_f32 v0, -v18, v2, v15
	v_cvt_f32_i32_e32 v15, v14
	v_cvt_f32_i32_e32 v14, v4
	v_div_fixup_f32 v4, v26, v25, 1.0
	s_delay_alu instid0(VALU_DEP_4)
	v_div_fmas_f32 v2, v0, v16, v2
	s_wait_dscnt 0x0
	v_mul_f32_e32 v0, v13, v15
	v_pk_add_f32 v[16:17], v[6:7], v[10:11] neg_lo:[0,1] neg_hi:[0,1]
	v_cmp_gt_u32_e32 vcc_lo, 30, v9
	v_div_fixup_f32 v16, v2, v28, 1.0
	s_delay_alu instid0(VALU_DEP_4) | instskip(NEXT) | instid1(VALU_DEP_4)
	v_pk_fma_f32 v[18:19], v[12:13], v[14:15], v[0:1] op_sel_hi:[1,1,0]
	v_mov_b32_e32 v19, v17
	v_cndmask_b32_e64 v0, 0, 2, vcc_lo
	v_cvt_f32_i32_e32 v2, v20
	s_delay_alu instid0(VALU_DEP_3) | instskip(NEXT) | instid1(VALU_DEP_3)
	v_pk_mul_f32 v[18:19], v[16:17], v[18:19]
	v_add_lshl_u32 v27, v0, v9, 2
	v_add_co_ci_u32_e64 v9, null, 0, v9, s0
	ds_bpermute_b32 v17, v24, v18
	ds_bpermute_b32 v28, v27, v6
	v_mov_b32_e32 v7, v10
	v_pk_mul_f32 v[10:11], v[18:19], v[2:3]
	v_lshlrev_b32_e32 v9, 2, v9
	s_wait_dscnt 0x1
	v_mul_f32_e32 v0, v29, v17
	s_delay_alu instid0(VALU_DEP_3)
	v_pk_mul_f32 v[10:11], v[10:11], v[6:7]
	ds_bpermute_b32 v7, v22, v1
	s_wait_dscnt 0x1
	v_add_nc_u32_e32 v30, v28, v6
	v_cvt_f32_i32_e32 v22, v6
	v_pk_fma_f32 v[20:21], v[18:19], v[2:3], v[0:1]
	v_mov_b32_e32 v21, v11
	v_cvt_f32_i32_e32 v28, v28
	s_delay_alu instid0(VALU_DEP_2)
	v_pk_mul_f32 v[10:11], v[4:5], v[20:21]
	ds_bpermute_b32 v19, v27, v10
	s_wait_dscnt 0x1
	v_pk_fma_f32 v[6:7], v[4:5], v[20:21], v[6:7]
	v_max_i32_e32 v0, 1, v30
	v_pk_mul_f32 v[20:21], v[10:11], v[22:23]
	s_delay_alu instid0(VALU_DEP_3) | instskip(NEXT) | instid1(VALU_DEP_3)
	v_dual_sub_f32 v11, v12, v13 :: v_dual_mov_b32 v21, v7
	v_cvt_f32_u32_e32 v3, v0
	s_delay_alu instid0(VALU_DEP_1) | instskip(SKIP_3) | instid1(VALU_DEP_3)
	v_div_scale_f32 v25, null, v3, v3, 1.0
	v_div_scale_f32 v5, vcc_lo, 1.0, v3, 1.0
	s_wait_dscnt 0x0
	v_sub_f32_e32 v10, v10, v19
	v_rcp_f32_e32 v26, v25
	v_nop
	s_delay_alu instid0(TRANS32_DEP_1) | instskip(NEXT) | instid1(VALU_DEP_1)
	v_fma_f32 v0, -v25, v26, 1.0
	v_fmac_f32_e32 v26, v0, v26
	s_delay_alu instid0(VALU_DEP_1) | instskip(NEXT) | instid1(VALU_DEP_1)
	v_dual_mul_f32 v0, v28, v19 :: v_dual_mul_f32 v6, v5, v26
	v_pk_add_f32 v[0:1], v[0:1], v[20:21]
	s_delay_alu instid0(VALU_DEP_2)
	v_fma_f32 v7, -v25, v6, v5
	ds_bpermute_b32 v13, v23, v1
	v_fmac_f32_e32 v6, v7, v26
	v_mul_f32_e32 v7, v11, v11
	ds_bpermute_b32 v11, v9, v30
	v_dual_fma_f32 v5, -v25, v6, v5 :: v_dual_mul_f32 v7, v7, v15
	s_delay_alu instid0(VALU_DEP_1) | instskip(NEXT) | instid1(VALU_DEP_2)
	v_div_fmas_f32 v5, v5, v26, v6
	v_mul_f32_e32 v6, v7, v14
	s_delay_alu instid0(VALU_DEP_2) | instskip(SKIP_1) | instid1(VALU_DEP_2)
	v_div_fixup_f32 v12, v5, v3, 1.0
	s_wait_dscnt 0x1
	v_dual_sub_f32 v5, v18, v17 :: v_dual_fmac_f32 v13, v16, v6
	s_delay_alu instid0(VALU_DEP_1) | instskip(NEXT) | instid1(VALU_DEP_2)
	v_mul_f32_e32 v5, v5, v5
	v_pk_add_f32 v[14:15], v[0:1], v[12:13]
	v_pk_mul_f32 v[16:17], v[0:1], v[12:13]
	s_wait_dscnt 0x0
	s_delay_alu instid0(VALU_DEP_3) | instskip(SKIP_4) | instid1(VALU_DEP_3)
	v_dual_add_nc_u32 v7, v11, v30 :: v_dual_mul_f32 v5, v5, v29
	ds_bpermute_b32 v3, v24, v15
	v_dual_mov_b32 v14, v16 :: v_dual_max_i32 v6, 1, v7
	v_mul_f32_e32 v5, v5, v2
	v_cvt_f32_i32_e32 v2, v30
	v_cvt_f32_u32_e32 v6, v6
	s_delay_alu instid0(VALU_DEP_1) | instskip(SKIP_1) | instid1(VALU_DEP_2)
	v_div_scale_f32 v18, null, v6, v6, 1.0
	v_div_scale_f32 v21, vcc_lo, 1.0, v6, 1.0
	v_rcp_f32_e32 v19, v18
	s_wait_dscnt 0x0
	v_fmac_f32_e32 v3, v4, v5
	s_delay_alu instid0(VALU_DEP_1)
	v_pk_add_f32 v[4:5], v[14:15], v[2:3]
	ds_bpermute_b32 v4, v9, v16
	v_mul_f32_e32 v3, v10, v10
	v_fma_f32 v10, -v18, v19, 1.0
	ds_bpermute_b32 v20, v27, v5
	v_dual_fmac_f32 v19, v10, v19 :: v_dual_mul_f32 v3, v3, v28
	s_delay_alu instid0(VALU_DEP_1) | instskip(SKIP_2) | instid1(VALU_DEP_1)
	v_dual_mul_f32 v23, v21, v19 :: v_dual_mul_f32 v3, v3, v22
	v_cvt_f32_i32_e32 v22, v11
	s_wait_dscnt 0x1
	v_dual_mul_f32 v10, v22, v4 :: v_dual_mul_f32 v3, v12, v3
	v_pk_fma_f32 v[0:1], v[0:1], v[12:13], v[4:5] neg_lo:[0,0,1] neg_hi:[0,0,1]
	s_delay_alu instid0(VALU_DEP_2) | instskip(SKIP_2) | instid1(VALU_DEP_3)
	v_pk_mul_f32 v[14:15], v[16:17], v[2:3]
	s_wait_dscnt 0x0
	v_dual_mov_b32 v15, v5 :: v_dual_add_f32 v11, v3, v20
	v_dual_fma_f32 v3, -v18, v23, v21 :: v_dual_mul_f32 v0, v0, v0
	s_delay_alu instid0(VALU_DEP_2) | instskip(NEXT) | instid1(VALU_DEP_2)
	v_pk_add_f32 v[10:11], v[14:15], v[10:11]
	v_dual_fmac_f32 v23, v3, v19 :: v_dual_mul_f32 v0, v0, v22
	ds_bpermute_b32 v3, v9, v11
	v_dual_fma_f32 v1, -v18, v23, v21 :: v_dual_mul_f32 v0, v0, v2
	s_delay_alu instid0(VALU_DEP_1) | instskip(NEXT) | instid1(VALU_DEP_1)
	v_div_fmas_f32 v1, v1, v19, v23
	v_div_fixup_f32 v4, v1, v6, 1.0
	s_wait_dscnt 0x0
	s_delay_alu instid0(VALU_DEP_1) | instskip(NEXT) | instid1(VALU_DEP_1)
	v_fmac_f32_e32 v3, v4, v0
	v_pk_add_f32 v[0:1], v[10:11], v[2:3]
	v_mul_f32_e32 v0, v10, v4
.LBB0_18:
	s_or_b32 exec_lo, exec_lo, s1
	s_delay_alu instid0(SALU_CYCLE_1)
	s_mov_b32 s0, exec_lo
	v_cmpx_eq_u32_e32 0, v8
	s_cbranch_execz .LBB0_20
; %bb.19:
	s_wait_dscnt 0x0
	v_cvt_f32_i32_e32 v2, v7
	s_delay_alu instid0(VALU_DEP_1) | instskip(NEXT) | instid1(VALU_DEP_1)
	v_div_scale_f32 v3, null, v2, v2, v1
	v_rcp_f32_e32 v4, v3
	v_nop
	s_delay_alu instid0(TRANS32_DEP_1) | instskip(NEXT) | instid1(VALU_DEP_1)
	v_fma_f32 v5, -v3, v4, 1.0
	v_fmac_f32_e32 v4, v5, v4
	v_div_scale_f32 v5, vcc_lo, v1, v2, v1
	s_delay_alu instid0(VALU_DEP_1) | instskip(NEXT) | instid1(VALU_DEP_1)
	v_mul_f32_e32 v6, v5, v4
	v_fma_f32 v7, -v3, v6, v5
	s_delay_alu instid0(VALU_DEP_1) | instskip(NEXT) | instid1(VALU_DEP_1)
	v_fmac_f32_e32 v6, v7, v4
	v_fma_f32 v3, -v3, v6, v5
	s_delay_alu instid0(VALU_DEP_1) | instskip(SKIP_1) | instid1(VALU_DEP_2)
	v_div_fmas_f32 v3, v3, v4, v6
	v_mov_b32_e32 v4, s11
	v_div_fixup_f32 v1, v3, v2, v1
	s_clause 0x1
	global_store_b32 v4, v0, s[4:5] scale_offset
	global_store_b32 v4, v1, s[6:7] scale_offset
.LBB0_20:
	s_endpgm
	.section	.rodata,"a",@progbits
	.p2align	6, 0x0
	.amdhsa_kernel _Z14welford_kernelIfffEvPKT_PT1_S4_iii
		.amdhsa_group_segment_fixed_size 640
		.amdhsa_private_segment_fixed_size 0
		.amdhsa_kernarg_size 296
		.amdhsa_user_sgpr_count 2
		.amdhsa_user_sgpr_dispatch_ptr 0
		.amdhsa_user_sgpr_queue_ptr 0
		.amdhsa_user_sgpr_kernarg_segment_ptr 1
		.amdhsa_user_sgpr_dispatch_id 0
		.amdhsa_user_sgpr_kernarg_preload_length 0
		.amdhsa_user_sgpr_kernarg_preload_offset 0
		.amdhsa_user_sgpr_private_segment_size 0
		.amdhsa_wavefront_size32 1
		.amdhsa_uses_dynamic_stack 0
		.amdhsa_enable_private_segment 0
		.amdhsa_system_sgpr_workgroup_id_x 1
		.amdhsa_system_sgpr_workgroup_id_y 0
		.amdhsa_system_sgpr_workgroup_id_z 0
		.amdhsa_system_sgpr_workgroup_info 0
		.amdhsa_system_vgpr_workitem_id 1
		.amdhsa_next_free_vgpr 49
		.amdhsa_next_free_sgpr 17
		.amdhsa_named_barrier_count 0
		.amdhsa_reserve_vcc 1
		.amdhsa_float_round_mode_32 0
		.amdhsa_float_round_mode_16_64 0
		.amdhsa_float_denorm_mode_32 3
		.amdhsa_float_denorm_mode_16_64 3
		.amdhsa_fp16_overflow 0
		.amdhsa_memory_ordered 1
		.amdhsa_forward_progress 1
		.amdhsa_inst_pref_size 25
		.amdhsa_round_robin_scheduling 0
		.amdhsa_exception_fp_ieee_invalid_op 0
		.amdhsa_exception_fp_denorm_src 0
		.amdhsa_exception_fp_ieee_div_zero 0
		.amdhsa_exception_fp_ieee_overflow 0
		.amdhsa_exception_fp_ieee_underflow 0
		.amdhsa_exception_fp_ieee_inexact 0
		.amdhsa_exception_int_div_zero 0
	.end_amdhsa_kernel
	.section	.text._Z14welford_kernelIfffEvPKT_PT1_S4_iii,"axG",@progbits,_Z14welford_kernelIfffEvPKT_PT1_S4_iii,comdat
.Lfunc_end0:
	.size	_Z14welford_kernelIfffEvPKT_PT1_S4_iii, .Lfunc_end0-_Z14welford_kernelIfffEvPKT_PT1_S4_iii
                                        ; -- End function
	.set _Z14welford_kernelIfffEvPKT_PT1_S4_iii.num_vgpr, 49
	.set _Z14welford_kernelIfffEvPKT_PT1_S4_iii.num_agpr, 0
	.set _Z14welford_kernelIfffEvPKT_PT1_S4_iii.numbered_sgpr, 17
	.set _Z14welford_kernelIfffEvPKT_PT1_S4_iii.num_named_barrier, 0
	.set _Z14welford_kernelIfffEvPKT_PT1_S4_iii.private_seg_size, 0
	.set _Z14welford_kernelIfffEvPKT_PT1_S4_iii.uses_vcc, 1
	.set _Z14welford_kernelIfffEvPKT_PT1_S4_iii.uses_flat_scratch, 0
	.set _Z14welford_kernelIfffEvPKT_PT1_S4_iii.has_dyn_sized_stack, 0
	.set _Z14welford_kernelIfffEvPKT_PT1_S4_iii.has_recursion, 0
	.set _Z14welford_kernelIfffEvPKT_PT1_S4_iii.has_indirect_call, 0
	.section	.AMDGPU.csdata,"",@progbits
; Kernel info:
; codeLenInByte = 3200
; TotalNumSgprs: 19
; NumVgprs: 49
; ScratchSize: 0
; MemoryBound: 0
; FloatMode: 240
; IeeeMode: 1
; LDSByteSize: 640 bytes/workgroup (compile time only)
; SGPRBlocks: 0
; VGPRBlocks: 3
; NumSGPRsForWavesPerEU: 19
; NumVGPRsForWavesPerEU: 49
; NamedBarCnt: 0
; Occupancy: 16
; WaveLimiterHint : 0
; COMPUTE_PGM_RSRC2:SCRATCH_EN: 0
; COMPUTE_PGM_RSRC2:USER_SGPR: 2
; COMPUTE_PGM_RSRC2:TRAP_HANDLER: 0
; COMPUTE_PGM_RSRC2:TGID_X_EN: 1
; COMPUTE_PGM_RSRC2:TGID_Y_EN: 0
; COMPUTE_PGM_RSRC2:TGID_Z_EN: 0
; COMPUTE_PGM_RSRC2:TIDIG_COMP_CNT: 1
	.section	.AMDGPU.gpr_maximums,"",@progbits
	.set amdgpu.max_num_vgpr, 0
	.set amdgpu.max_num_agpr, 0
	.set amdgpu.max_num_sgpr, 0
	.section	.AMDGPU.csdata,"",@progbits
	.type	__hip_cuid_94a3a3f6dbc65360,@object ; @__hip_cuid_94a3a3f6dbc65360
	.section	.bss,"aw",@nobits
	.globl	__hip_cuid_94a3a3f6dbc65360
__hip_cuid_94a3a3f6dbc65360:
	.byte	0                               ; 0x0
	.size	__hip_cuid_94a3a3f6dbc65360, 1

	.ident	"AMD clang version 22.0.0git (https://github.com/RadeonOpenCompute/llvm-project roc-7.2.4 26084 f58b06dce1f9c15707c5f808fd002e18c2accf7e)"
	.section	".note.GNU-stack","",@progbits
	.addrsig
	.addrsig_sym __hip_cuid_94a3a3f6dbc65360
	.amdgpu_metadata
---
amdhsa.kernels:
  - .args:
      - .actual_access:  read_only
        .address_space:  global
        .offset:         0
        .size:           8
        .value_kind:     global_buffer
      - .actual_access:  write_only
        .address_space:  global
        .offset:         8
        .size:           8
        .value_kind:     global_buffer
      - .actual_access:  write_only
        .address_space:  global
        .offset:         16
        .size:           8
        .value_kind:     global_buffer
      - .offset:         24
        .size:           4
        .value_kind:     by_value
      - .offset:         28
        .size:           4
        .value_kind:     by_value
      - .offset:         32
        .size:           4
        .value_kind:     by_value
      - .offset:         40
        .size:           4
        .value_kind:     hidden_block_count_x
      - .offset:         44
        .size:           4
        .value_kind:     hidden_block_count_y
      - .offset:         48
        .size:           4
        .value_kind:     hidden_block_count_z
      - .offset:         52
        .size:           2
        .value_kind:     hidden_group_size_x
      - .offset:         54
        .size:           2
        .value_kind:     hidden_group_size_y
      - .offset:         56
        .size:           2
        .value_kind:     hidden_group_size_z
      - .offset:         58
        .size:           2
        .value_kind:     hidden_remainder_x
      - .offset:         60
        .size:           2
        .value_kind:     hidden_remainder_y
      - .offset:         62
        .size:           2
        .value_kind:     hidden_remainder_z
      - .offset:         80
        .size:           8
        .value_kind:     hidden_global_offset_x
      - .offset:         88
        .size:           8
        .value_kind:     hidden_global_offset_y
      - .offset:         96
        .size:           8
        .value_kind:     hidden_global_offset_z
      - .offset:         104
        .size:           2
        .value_kind:     hidden_grid_dims
    .group_segment_fixed_size: 640
    .kernarg_segment_align: 8
    .kernarg_segment_size: 296
    .language:       OpenCL C
    .language_version:
      - 2
      - 0
    .max_flat_workgroup_size: 1024
    .name:           _Z14welford_kernelIfffEvPKT_PT1_S4_iii
    .private_segment_fixed_size: 0
    .sgpr_count:     19
    .sgpr_spill_count: 0
    .symbol:         _Z14welford_kernelIfffEvPKT_PT1_S4_iii.kd
    .uniform_work_group_size: 1
    .uses_dynamic_stack: false
    .vgpr_count:     49
    .vgpr_spill_count: 0
    .wavefront_size: 32
amdhsa.target:   amdgcn-amd-amdhsa--gfx1250
amdhsa.version:
  - 1
  - 2
...

	.end_amdgpu_metadata
